;; amdgpu-corpus repo=ROCm/rocFFT kind=compiled arch=gfx1201 opt=O3
	.text
	.amdgcn_target "amdgcn-amd-amdhsa--gfx1201"
	.amdhsa_code_object_version 6
	.protected	fft_rtc_back_len770_factors_11_10_7_wgs_220_tpt_110_dp_ip_CI_unitstride_sbrr_dirReg ; -- Begin function fft_rtc_back_len770_factors_11_10_7_wgs_220_tpt_110_dp_ip_CI_unitstride_sbrr_dirReg
	.globl	fft_rtc_back_len770_factors_11_10_7_wgs_220_tpt_110_dp_ip_CI_unitstride_sbrr_dirReg
	.p2align	8
	.type	fft_rtc_back_len770_factors_11_10_7_wgs_220_tpt_110_dp_ip_CI_unitstride_sbrr_dirReg,@function
fft_rtc_back_len770_factors_11_10_7_wgs_220_tpt_110_dp_ip_CI_unitstride_sbrr_dirReg: ; @fft_rtc_back_len770_factors_11_10_7_wgs_220_tpt_110_dp_ip_CI_unitstride_sbrr_dirReg
; %bb.0:
	s_clause 0x2
	s_load_b128 s[4:7], s[0:1], 0x0
	s_load_b64 s[8:9], s[0:1], 0x50
	s_load_b64 s[10:11], s[0:1], 0x18
	v_mul_u32_u24_e32 v1, 0x254, v0
	v_mov_b32_e32 v3, 0
	s_delay_alu instid0(VALU_DEP_2) | instskip(SKIP_2) | instid1(VALU_DEP_4)
	v_lshrrev_b32_e32 v88, 16, v1
	v_mov_b32_e32 v1, 0
	v_mov_b32_e32 v2, 0
	;; [unrolled: 1-line block ×3, first 2 shown]
	s_delay_alu instid0(VALU_DEP_4) | instskip(SKIP_2) | instid1(VALU_DEP_1)
	v_lshl_add_u32 v5, ttmp9, 1, v88
	s_wait_kmcnt 0x0
	v_cmp_lt_u64_e64 s2, s[6:7], 2
	s_and_b32 vcc_lo, exec_lo, s2
	s_cbranch_vccnz .LBB0_8
; %bb.1:
	s_load_b64 s[2:3], s[0:1], 0x10
	v_mov_b32_e32 v1, 0
	v_mov_b32_e32 v2, 0
	s_add_nc_u64 s[12:13], s[10:11], 8
	s_mov_b64 s[14:15], 1
	s_wait_kmcnt 0x0
	s_add_nc_u64 s[16:17], s[2:3], 8
	s_mov_b32 s3, 0
.LBB0_2:                                ; =>This Inner Loop Header: Depth=1
	s_load_b64 s[18:19], s[16:17], 0x0
                                        ; implicit-def: $vgpr7_vgpr8
	s_mov_b32 s2, exec_lo
	s_wait_kmcnt 0x0
	v_or_b32_e32 v4, s19, v6
	s_delay_alu instid0(VALU_DEP_1)
	v_cmpx_ne_u64_e32 0, v[3:4]
	s_wait_alu 0xfffe
	s_xor_b32 s20, exec_lo, s2
	s_cbranch_execz .LBB0_4
; %bb.3:                                ;   in Loop: Header=BB0_2 Depth=1
	s_cvt_f32_u32 s2, s18
	s_cvt_f32_u32 s21, s19
	s_sub_nc_u64 s[24:25], 0, s[18:19]
	s_wait_alu 0xfffe
	s_delay_alu instid0(SALU_CYCLE_1) | instskip(SKIP_1) | instid1(SALU_CYCLE_2)
	s_fmamk_f32 s2, s21, 0x4f800000, s2
	s_wait_alu 0xfffe
	v_s_rcp_f32 s2, s2
	s_delay_alu instid0(TRANS32_DEP_1) | instskip(SKIP_1) | instid1(SALU_CYCLE_2)
	s_mul_f32 s2, s2, 0x5f7ffffc
	s_wait_alu 0xfffe
	s_mul_f32 s21, s2, 0x2f800000
	s_wait_alu 0xfffe
	s_delay_alu instid0(SALU_CYCLE_2) | instskip(SKIP_1) | instid1(SALU_CYCLE_2)
	s_trunc_f32 s21, s21
	s_wait_alu 0xfffe
	s_fmamk_f32 s2, s21, 0xcf800000, s2
	s_cvt_u32_f32 s23, s21
	s_wait_alu 0xfffe
	s_delay_alu instid0(SALU_CYCLE_1) | instskip(SKIP_1) | instid1(SALU_CYCLE_2)
	s_cvt_u32_f32 s22, s2
	s_wait_alu 0xfffe
	s_mul_u64 s[26:27], s[24:25], s[22:23]
	s_wait_alu 0xfffe
	s_mul_hi_u32 s29, s22, s27
	s_mul_i32 s28, s22, s27
	s_mul_hi_u32 s2, s22, s26
	s_mul_i32 s30, s23, s26
	s_wait_alu 0xfffe
	s_add_nc_u64 s[28:29], s[2:3], s[28:29]
	s_mul_hi_u32 s21, s23, s26
	s_mul_hi_u32 s31, s23, s27
	s_add_co_u32 s2, s28, s30
	s_wait_alu 0xfffe
	s_add_co_ci_u32 s2, s29, s21
	s_mul_i32 s26, s23, s27
	s_add_co_ci_u32 s27, s31, 0
	s_wait_alu 0xfffe
	s_add_nc_u64 s[26:27], s[2:3], s[26:27]
	s_wait_alu 0xfffe
	v_add_co_u32 v4, s2, s22, s26
	s_delay_alu instid0(VALU_DEP_1) | instskip(SKIP_1) | instid1(VALU_DEP_1)
	s_cmp_lg_u32 s2, 0
	s_add_co_ci_u32 s23, s23, s27
	v_readfirstlane_b32 s22, v4
	s_wait_alu 0xfffe
	s_delay_alu instid0(VALU_DEP_1)
	s_mul_u64 s[24:25], s[24:25], s[22:23]
	s_wait_alu 0xfffe
	s_mul_hi_u32 s27, s22, s25
	s_mul_i32 s26, s22, s25
	s_mul_hi_u32 s2, s22, s24
	s_mul_i32 s28, s23, s24
	s_wait_alu 0xfffe
	s_add_nc_u64 s[26:27], s[2:3], s[26:27]
	s_mul_hi_u32 s21, s23, s24
	s_mul_hi_u32 s22, s23, s25
	s_wait_alu 0xfffe
	s_add_co_u32 s2, s26, s28
	s_add_co_ci_u32 s2, s27, s21
	s_mul_i32 s24, s23, s25
	s_add_co_ci_u32 s25, s22, 0
	s_wait_alu 0xfffe
	s_add_nc_u64 s[24:25], s[2:3], s[24:25]
	s_wait_alu 0xfffe
	v_add_co_u32 v4, s2, v4, s24
	s_delay_alu instid0(VALU_DEP_1) | instskip(SKIP_1) | instid1(VALU_DEP_1)
	s_cmp_lg_u32 s2, 0
	s_add_co_ci_u32 s2, s23, s25
	v_mul_hi_u32 v13, v5, v4
	s_wait_alu 0xfffe
	v_mad_co_u64_u32 v[7:8], null, v5, s2, 0
	v_mad_co_u64_u32 v[9:10], null, v6, v4, 0
	;; [unrolled: 1-line block ×3, first 2 shown]
	s_delay_alu instid0(VALU_DEP_3) | instskip(SKIP_1) | instid1(VALU_DEP_4)
	v_add_co_u32 v4, vcc_lo, v13, v7
	s_wait_alu 0xfffd
	v_add_co_ci_u32_e32 v7, vcc_lo, 0, v8, vcc_lo
	s_delay_alu instid0(VALU_DEP_2) | instskip(SKIP_1) | instid1(VALU_DEP_2)
	v_add_co_u32 v4, vcc_lo, v4, v9
	s_wait_alu 0xfffd
	v_add_co_ci_u32_e32 v4, vcc_lo, v7, v10, vcc_lo
	s_wait_alu 0xfffd
	v_add_co_ci_u32_e32 v7, vcc_lo, 0, v12, vcc_lo
	s_delay_alu instid0(VALU_DEP_2) | instskip(SKIP_1) | instid1(VALU_DEP_2)
	v_add_co_u32 v4, vcc_lo, v4, v11
	s_wait_alu 0xfffd
	v_add_co_ci_u32_e32 v9, vcc_lo, 0, v7, vcc_lo
	s_delay_alu instid0(VALU_DEP_2) | instskip(SKIP_1) | instid1(VALU_DEP_3)
	v_mul_lo_u32 v10, s19, v4
	v_mad_co_u64_u32 v[7:8], null, s18, v4, 0
	v_mul_lo_u32 v11, s18, v9
	s_delay_alu instid0(VALU_DEP_2) | instskip(NEXT) | instid1(VALU_DEP_2)
	v_sub_co_u32 v7, vcc_lo, v5, v7
	v_add3_u32 v8, v8, v11, v10
	s_delay_alu instid0(VALU_DEP_1) | instskip(SKIP_1) | instid1(VALU_DEP_1)
	v_sub_nc_u32_e32 v10, v6, v8
	s_wait_alu 0xfffd
	v_subrev_co_ci_u32_e64 v10, s2, s19, v10, vcc_lo
	v_add_co_u32 v11, s2, v4, 2
	s_wait_alu 0xf1ff
	v_add_co_ci_u32_e64 v12, s2, 0, v9, s2
	v_sub_co_u32 v13, s2, v7, s18
	v_sub_co_ci_u32_e32 v8, vcc_lo, v6, v8, vcc_lo
	s_wait_alu 0xf1ff
	v_subrev_co_ci_u32_e64 v10, s2, 0, v10, s2
	s_delay_alu instid0(VALU_DEP_3) | instskip(NEXT) | instid1(VALU_DEP_3)
	v_cmp_le_u32_e32 vcc_lo, s18, v13
	v_cmp_eq_u32_e64 s2, s19, v8
	s_wait_alu 0xfffd
	v_cndmask_b32_e64 v13, 0, -1, vcc_lo
	v_cmp_le_u32_e32 vcc_lo, s19, v10
	s_wait_alu 0xfffd
	v_cndmask_b32_e64 v14, 0, -1, vcc_lo
	v_cmp_le_u32_e32 vcc_lo, s18, v7
	;; [unrolled: 3-line block ×3, first 2 shown]
	s_wait_alu 0xfffd
	v_cndmask_b32_e64 v15, 0, -1, vcc_lo
	v_cmp_eq_u32_e32 vcc_lo, s19, v10
	s_wait_alu 0xf1ff
	s_delay_alu instid0(VALU_DEP_2)
	v_cndmask_b32_e64 v7, v15, v7, s2
	s_wait_alu 0xfffd
	v_cndmask_b32_e32 v10, v14, v13, vcc_lo
	v_add_co_u32 v13, vcc_lo, v4, 1
	s_wait_alu 0xfffd
	v_add_co_ci_u32_e32 v14, vcc_lo, 0, v9, vcc_lo
	s_delay_alu instid0(VALU_DEP_3) | instskip(SKIP_2) | instid1(VALU_DEP_3)
	v_cmp_ne_u32_e32 vcc_lo, 0, v10
	s_wait_alu 0xfffd
	v_cndmask_b32_e32 v10, v13, v11, vcc_lo
	v_cndmask_b32_e32 v8, v14, v12, vcc_lo
	v_cmp_ne_u32_e32 vcc_lo, 0, v7
	s_wait_alu 0xfffd
	s_delay_alu instid0(VALU_DEP_2)
	v_dual_cndmask_b32 v7, v4, v10 :: v_dual_cndmask_b32 v8, v9, v8
.LBB0_4:                                ;   in Loop: Header=BB0_2 Depth=1
	s_wait_alu 0xfffe
	s_and_not1_saveexec_b32 s2, s20
	s_cbranch_execz .LBB0_6
; %bb.5:                                ;   in Loop: Header=BB0_2 Depth=1
	v_cvt_f32_u32_e32 v4, s18
	s_sub_co_i32 s20, 0, s18
	s_delay_alu instid0(VALU_DEP_1) | instskip(NEXT) | instid1(TRANS32_DEP_1)
	v_rcp_iflag_f32_e32 v4, v4
	v_mul_f32_e32 v4, 0x4f7ffffe, v4
	s_delay_alu instid0(VALU_DEP_1) | instskip(SKIP_1) | instid1(VALU_DEP_1)
	v_cvt_u32_f32_e32 v4, v4
	s_wait_alu 0xfffe
	v_mul_lo_u32 v7, s20, v4
	s_delay_alu instid0(VALU_DEP_1) | instskip(NEXT) | instid1(VALU_DEP_1)
	v_mul_hi_u32 v7, v4, v7
	v_add_nc_u32_e32 v4, v4, v7
	s_delay_alu instid0(VALU_DEP_1) | instskip(NEXT) | instid1(VALU_DEP_1)
	v_mul_hi_u32 v4, v5, v4
	v_mul_lo_u32 v7, v4, s18
	v_add_nc_u32_e32 v8, 1, v4
	s_delay_alu instid0(VALU_DEP_2) | instskip(NEXT) | instid1(VALU_DEP_1)
	v_sub_nc_u32_e32 v7, v5, v7
	v_subrev_nc_u32_e32 v9, s18, v7
	v_cmp_le_u32_e32 vcc_lo, s18, v7
	s_wait_alu 0xfffd
	s_delay_alu instid0(VALU_DEP_2) | instskip(NEXT) | instid1(VALU_DEP_1)
	v_dual_cndmask_b32 v7, v7, v9 :: v_dual_cndmask_b32 v4, v4, v8
	v_cmp_le_u32_e32 vcc_lo, s18, v7
	s_delay_alu instid0(VALU_DEP_2) | instskip(SKIP_1) | instid1(VALU_DEP_1)
	v_add_nc_u32_e32 v8, 1, v4
	s_wait_alu 0xfffd
	v_dual_cndmask_b32 v7, v4, v8 :: v_dual_mov_b32 v8, v3
.LBB0_6:                                ;   in Loop: Header=BB0_2 Depth=1
	s_wait_alu 0xfffe
	s_or_b32 exec_lo, exec_lo, s2
	s_load_b64 s[20:21], s[12:13], 0x0
	s_delay_alu instid0(VALU_DEP_1)
	v_mul_lo_u32 v4, v8, s18
	v_mul_lo_u32 v11, v7, s19
	v_mad_co_u64_u32 v[9:10], null, v7, s18, 0
	s_add_nc_u64 s[14:15], s[14:15], 1
	s_add_nc_u64 s[12:13], s[12:13], 8
	s_wait_alu 0xfffe
	v_cmp_ge_u64_e64 s2, s[14:15], s[6:7]
	s_add_nc_u64 s[16:17], s[16:17], 8
	s_delay_alu instid0(VALU_DEP_2) | instskip(NEXT) | instid1(VALU_DEP_3)
	v_add3_u32 v4, v10, v11, v4
	v_sub_co_u32 v5, vcc_lo, v5, v9
	s_wait_alu 0xfffd
	s_delay_alu instid0(VALU_DEP_2) | instskip(SKIP_3) | instid1(VALU_DEP_2)
	v_sub_co_ci_u32_e32 v4, vcc_lo, v6, v4, vcc_lo
	s_and_b32 vcc_lo, exec_lo, s2
	s_wait_kmcnt 0x0
	v_mul_lo_u32 v6, s21, v5
	v_mul_lo_u32 v4, s20, v4
	v_mad_co_u64_u32 v[1:2], null, s20, v5, v[1:2]
	s_delay_alu instid0(VALU_DEP_1)
	v_add3_u32 v2, v6, v2, v4
	s_wait_alu 0xfffe
	s_cbranch_vccnz .LBB0_9
; %bb.7:                                ;   in Loop: Header=BB0_2 Depth=1
	v_dual_mov_b32 v5, v7 :: v_dual_mov_b32 v6, v8
	s_branch .LBB0_2
.LBB0_8:
	v_dual_mov_b32 v8, v6 :: v_dual_mov_b32 v7, v5
.LBB0_9:
	s_lshl_b64 s[2:3], s[6:7], 3
	v_mul_hi_u32 v3, 0x253c826, v0
	s_wait_alu 0xfffe
	s_add_nc_u64 s[2:3], s[10:11], s[2:3]
	v_mov_b32_e32 v46, 0
	s_load_b64 s[2:3], s[2:3], 0x0
	s_load_b64 s[0:1], s[0:1], 0x20
                                        ; implicit-def: $vgpr10_vgpr11
                                        ; implicit-def: $vgpr14_vgpr15
                                        ; implicit-def: $vgpr26_vgpr27
                                        ; implicit-def: $vgpr22_vgpr23
                                        ; implicit-def: $vgpr18_vgpr19
                                        ; implicit-def: $vgpr38_vgpr39
                                        ; implicit-def: $vgpr34_vgpr35
                                        ; implicit-def: $vgpr30_vgpr31
                                        ; implicit-def: $vgpr42_vgpr43
	s_wait_kmcnt 0x0
	v_mul_lo_u32 v4, s2, v8
	v_mul_lo_u32 v5, s3, v7
	v_mad_co_u64_u32 v[44:45], null, s2, v7, v[1:2]
	v_mul_u32_u24_e32 v1, 0x6e, v3
	v_cmp_gt_u64_e32 vcc_lo, s[0:1], v[7:8]
                                        ; implicit-def: $vgpr6_vgpr7
                                        ; implicit-def: $vgpr2_vgpr3
	s_delay_alu instid0(VALU_DEP_2) | instskip(NEXT) | instid1(VALU_DEP_4)
	v_sub_nc_u32_e32 v47, v0, v1
	v_add3_u32 v45, v5, v45, v4
	s_and_saveexec_b32 s1, vcc_lo
	s_cbranch_execz .LBB0_13
; %bb.10:
	s_mov_b32 s2, exec_lo
                                        ; implicit-def: $vgpr0_vgpr1
                                        ; implicit-def: $vgpr40_vgpr41
                                        ; implicit-def: $vgpr28_vgpr29
                                        ; implicit-def: $vgpr32_vgpr33
                                        ; implicit-def: $vgpr36_vgpr37
                                        ; implicit-def: $vgpr16_vgpr17
                                        ; implicit-def: $vgpr20_vgpr21
                                        ; implicit-def: $vgpr24_vgpr25
                                        ; implicit-def: $vgpr12_vgpr13
                                        ; implicit-def: $vgpr8_vgpr9
                                        ; implicit-def: $vgpr4_vgpr5
	v_cmpx_gt_u32_e32 0x46, v47
; %bb.11:
	v_mov_b32_e32 v48, 0
	v_lshlrev_b64_e32 v[0:1], 4, v[44:45]
	s_delay_alu instid0(VALU_DEP_2) | instskip(NEXT) | instid1(VALU_DEP_2)
	v_lshlrev_b64_e32 v[2:3], 4, v[47:48]
	v_add_co_u32 v0, s0, s8, v0
	s_wait_alu 0xf1ff
	s_delay_alu instid0(VALU_DEP_3) | instskip(NEXT) | instid1(VALU_DEP_2)
	v_add_co_ci_u32_e64 v1, s0, s9, v1, s0
	v_add_co_u32 v4, s0, v0, v2
	s_wait_alu 0xf1ff
	s_delay_alu instid0(VALU_DEP_2)
	v_add_co_ci_u32_e64 v5, s0, v1, v3, s0
	s_clause 0xa
	global_load_b128 v[0:3], v[4:5], off
	global_load_b128 v[40:43], v[4:5], off offset:1120
	global_load_b128 v[28:31], v[4:5], off offset:2240
	;; [unrolled: 1-line block ×10, first 2 shown]
; %bb.12:
	s_wait_alu 0xfffe
	s_or_b32 exec_lo, exec_lo, s2
	v_mov_b32_e32 v46, v47
.LBB0_13:
	s_wait_alu 0xfffe
	s_or_b32 exec_lo, exec_lo, s1
	s_wait_loadcnt 0x9
	v_add_f64_e32 v[48:49], v[40:41], v[0:1]
	v_add_f64_e32 v[50:51], v[42:43], v[2:3]
	s_wait_loadcnt 0x0
	v_add_f64_e32 v[64:65], v[4:5], v[40:41]
	v_add_f64_e64 v[40:41], v[40:41], -v[4:5]
	s_mov_b32 s2, 0x8764f0ba
	s_mov_b32 s6, 0xf8bb580b
	;; [unrolled: 1-line block ×6, first 2 shown]
	v_add_f64_e32 v[74:75], v[8:9], v[28:29]
	v_add_f64_e32 v[56:57], v[6:7], v[42:43]
	v_add_f64_e64 v[54:55], v[30:31], -v[10:11]
	s_mov_b32 s12, 0xd9c712b6
	s_mov_b32 s14, 0x43842ef
	;; [unrolled: 1-line block ×6, first 2 shown]
	v_add_f64_e32 v[70:71], v[10:11], v[30:31]
	v_add_f64_e32 v[80:81], v[12:13], v[32:33]
	v_add_f64_e64 v[82:83], v[32:33], -v[12:13]
	v_add_f64_e64 v[58:59], v[34:35], -v[14:15]
	v_add_f64_e32 v[60:61], v[14:15], v[34:35]
	s_mov_b32 s16, 0x640f44db
	s_mov_b32 s20, 0x7f775887
	;; [unrolled: 1-line block ×8, first 2 shown]
	s_wait_alu 0xfffe
	s_mov_b32 s26, s22
	s_mov_b32 s31, 0x3fe14ced
	;; [unrolled: 1-line block ×6, first 2 shown]
	v_add_f64_e32 v[48:49], v[28:29], v[48:49]
	v_add_f64_e32 v[50:51], v[30:31], v[50:51]
	v_add_f64_e64 v[28:29], v[28:29], -v[8:9]
	v_mul_f64_e32 v[84:85], s[10:11], v[40:41]
	v_add_f64_e32 v[30:31], v[20:21], v[16:17]
	v_mul_f64_e32 v[86:87], s[14:15], v[40:41]
	v_mul_f64_e32 v[99:100], s[18:19], v[40:41]
	v_add_f64_e32 v[76:77], v[22:23], v[18:19]
	s_mov_b32 s24, 0x9bcd5057
	s_mov_b32 s25, 0xbfeeb42a
	v_mul_f64_e32 v[68:69], s[12:13], v[74:75]
	v_and_b32_e32 v88, 1, v88
	v_mul_f64_e32 v[91:92], s[18:19], v[54:55]
	s_wait_alu 0xfffe
	v_mul_f64_e32 v[105:106], s[26:27], v[54:55]
	v_mul_f64_e32 v[111:112], s[0:1], v[54:55]
	v_mul_f64_e32 v[103:104], s[26:27], v[58:59]
	v_mul_f64_e32 v[113:114], s[18:19], v[58:59]
	v_add_f64_e32 v[48:49], v[32:33], v[48:49]
	v_add_f64_e32 v[50:51], v[34:35], v[50:51]
	;; [unrolled: 1-line block ×3, first 2 shown]
	v_add_f64_e64 v[32:33], v[36:37], -v[24:25]
	v_mul_f64_e32 v[72:73], s[10:11], v[28:29]
	v_mul_f64_e32 v[93:94], s[18:19], v[28:29]
	v_fma_f64 v[101:102], v[56:57], s[12:13], -v[84:85]
	v_mul_f64_e32 v[109:110], s[26:27], v[28:29]
	v_mul_f64_e32 v[115:116], s[0:1], v[28:29]
	v_fma_f64 v[84:85], v[56:57], s[12:13], v[84:85]
	v_fma_f64 v[117:118], v[54:55], s[10:11], v[68:69]
	v_fma_f64 v[123:124], v[56:57], s[16:17], -v[86:87]
	v_fma_f64 v[125:126], v[74:75], s[20:21], v[91:92]
	v_fma_f64 v[86:87], v[56:57], s[16:17], v[86:87]
	v_fma_f64 v[131:132], v[56:57], s[20:21], -v[99:100]
	v_fma_f64 v[99:100], v[56:57], s[20:21], v[99:100]
	v_mul_f64_e32 v[28:29], s[30:31], v[28:29]
	v_fma_f64 v[91:92], v[74:75], s[20:21], -v[91:92]
	v_fma_f64 v[135:136], v[74:75], s[24:25], v[105:106]
	v_fma_f64 v[105:106], v[74:75], s[24:25], -v[105:106]
	v_fma_f64 v[133:134], v[80:81], s[24:25], v[103:104]
	v_fma_f64 v[103:104], v[80:81], s[24:25], -v[103:104]
	v_add_f64_e32 v[52:53], v[36:37], v[48:49]
	v_add_f64_e32 v[50:51], v[38:39], v[50:51]
	v_add_f64_e64 v[48:49], v[42:43], -v[6:7]
	v_fma_f64 v[121:122], v[70:71], s[12:13], -v[72:73]
	v_fma_f64 v[127:128], v[70:71], s[20:21], -v[93:94]
	v_fma_f64 v[93:94], v[70:71], s[20:21], v[93:94]
	v_add_f64_e32 v[101:102], v[2:3], v[101:102]
	v_fma_f64 v[139:140], v[70:71], s[24:25], -v[109:110]
	v_add_f64_e32 v[84:85], v[2:3], v[84:85]
	v_add_f64_e32 v[123:124], v[2:3], v[123:124]
	;; [unrolled: 1-line block ×6, first 2 shown]
	v_mul_f64_e32 v[50:51], s[2:3], v[64:65]
	v_mul_f64_e32 v[52:53], s[6:7], v[40:41]
	;; [unrolled: 1-line block ×3, first 2 shown]
	v_add_f64_e64 v[16:17], v[16:17], -v[20:21]
	v_mul_f64_e32 v[97:98], s[18:19], v[48:49]
	v_mul_f64_e32 v[107:108], s[22:23], v[48:49]
	;; [unrolled: 1-line block ×3, first 2 shown]
	v_add_f64_e32 v[101:102], v[127:128], v[101:102]
	v_add_f64_e32 v[84:85], v[93:94], v[84:85]
	;; [unrolled: 1-line block ×3, first 2 shown]
	v_mul_f64_e32 v[139:140], s[18:19], v[82:83]
	v_add_f64_e32 v[36:37], v[20:21], v[62:63]
	v_add_f64_e32 v[78:79], v[22:23], v[66:67]
	;; [unrolled: 1-line block ×3, first 2 shown]
	v_add_f64_e64 v[66:67], v[38:39], -v[26:27]
	v_fma_f64 v[20:21], v[48:49], s[6:7], v[50:51]
	v_mul_f64_e32 v[38:39], s[14:15], v[48:49]
	v_fma_f64 v[89:90], v[56:57], s[2:3], -v[52:53]
	v_fma_f64 v[95:96], v[64:65], s[12:13], v[42:43]
	v_fma_f64 v[42:43], v[64:65], s[12:13], -v[42:43]
	v_fma_f64 v[129:130], v[64:65], s[20:21], v[97:98]
	;; [unrolled: 2-line block ×3, first 2 shown]
	v_fma_f64 v[107:108], v[64:65], s[24:25], -v[107:108]
	v_add_f64_e32 v[24:25], v[24:25], v[36:37]
	v_add_f64_e32 v[26:27], v[26:27], v[78:79]
	v_mul_f64_e32 v[36:37], s[28:29], v[58:59]
	v_add_f64_e64 v[78:79], v[18:19], -v[22:23]
	v_mul_f64_e32 v[18:19], s[30:31], v[54:55]
	v_mul_f64_e32 v[22:23], s[6:7], v[58:59]
	v_add_f64_e32 v[20:21], v[0:1], v[20:21]
	v_fma_f64 v[119:120], v[64:65], s[16:17], v[38:39]
	v_add_f64_e32 v[89:90], v[2:3], v[89:90]
	v_fma_f64 v[38:39], v[64:65], s[16:17], -v[38:39]
	v_add_f64_e32 v[95:96], v[0:1], v[95:96]
	v_add_f64_e32 v[42:43], v[0:1], v[42:43]
	v_mul_f64_e32 v[64:65], s[16:17], v[80:81]
	v_add_f64_e32 v[97:98], v[0:1], v[97:98]
	v_add_f64_e32 v[127:128], v[0:1], v[137:138]
	v_mul_f64_e32 v[93:94], s[0:1], v[66:67]
	v_add_f64_e32 v[107:108], v[0:1], v[107:108]
	v_add_f64_e32 v[12:13], v[12:13], v[24:25]
	;; [unrolled: 1-line block ×3, first 2 shown]
	v_fma_f64 v[24:25], v[80:81], s[12:13], v[36:37]
	v_fma_f64 v[26:27], v[80:81], s[12:13], -v[36:37]
	v_fma_f64 v[36:37], v[74:75], s[16:17], v[111:112]
	v_fma_f64 v[111:112], v[74:75], s[16:17], -v[111:112]
	v_fma_f64 v[141:142], v[74:75], s[2:3], v[18:19]
	v_fma_f64 v[18:19], v[74:75], s[2:3], -v[18:19]
	v_fma_f64 v[143:144], v[80:81], s[2:3], v[22:23]
	v_fma_f64 v[22:23], v[80:81], s[2:3], -v[22:23]
	v_add_f64_e32 v[20:21], v[117:118], v[20:21]
	v_fma_f64 v[117:118], v[80:81], s[20:21], v[113:114]
	v_add_f64_e32 v[119:120], v[0:1], v[119:120]
	v_fma_f64 v[113:114], v[80:81], s[20:21], -v[113:114]
	v_add_f64_e32 v[89:90], v[121:122], v[89:90]
	v_fma_f64 v[121:122], v[56:57], s[24:25], -v[40:41]
	v_add_f64_e32 v[38:39], v[0:1], v[38:39]
	v_fma_f64 v[80:81], v[70:71], s[24:25], v[109:110]
	v_fma_f64 v[40:41], v[56:57], s[24:25], v[40:41]
	v_add_f64_e32 v[95:96], v[125:126], v[95:96]
	v_fma_f64 v[109:110], v[70:71], s[16:17], -v[115:116]
	v_add_f64_e32 v[125:126], v[0:1], v[129:130]
	v_add_f64_e32 v[129:130], v[2:3], v[131:132]
	v_mul_f64_e32 v[74:75], s[14:15], v[82:83]
	v_fma_f64 v[115:116], v[70:71], s[16:17], v[115:116]
	v_add_f64_e32 v[42:43], v[91:92], v[42:43]
	v_mul_f64_e32 v[91:92], s[26:27], v[82:83]
	v_mul_f64_e32 v[131:132], s[28:29], v[82:83]
	v_add_f64_e32 v[97:98], v[111:112], v[97:98]
	v_mul_f64_e32 v[111:112], s[28:29], v[66:67]
	v_add_f64_e32 v[127:128], v[141:142], v[127:128]
	v_add_f64_e32 v[18:19], v[18:19], v[107:108]
	;; [unrolled: 1-line block ×3, first 2 shown]
	v_fma_f64 v[135:136], v[70:71], s[2:3], -v[28:29]
	v_fma_f64 v[28:29], v[70:71], s[2:3], v[28:29]
	v_add_f64_e32 v[121:122], v[2:3], v[121:122]
	v_add_f64_e32 v[38:39], v[105:106], v[38:39]
	v_mul_f64_e32 v[105:106], s[6:7], v[66:67]
	v_add_f64_e32 v[40:41], v[2:3], v[40:41]
	v_add_f64_e32 v[86:87], v[80:81], v[86:87]
	v_mul_f64_e32 v[80:81], s[22:23], v[66:67]
	v_add_f64_e32 v[36:37], v[36:37], v[125:126]
	v_fma_f64 v[125:126], v[58:59], s[14:15], v[64:65]
	v_add_f64_e32 v[109:110], v[109:110], v[129:130]
	v_fma_f64 v[129:130], v[60:61], s[16:17], -v[74:75]
	v_add_f64_e32 v[99:100], v[115:116], v[99:100]
	v_mul_f64_e32 v[115:116], s[6:7], v[82:83]
	v_fma_f64 v[137:138], v[60:61], s[24:25], -v[91:92]
	v_fma_f64 v[91:92], v[60:61], s[24:25], v[91:92]
	v_fma_f64 v[107:108], v[60:61], s[12:13], -v[131:132]
	v_fma_f64 v[131:132], v[60:61], s[12:13], v[131:132]
	v_mul_f64_e32 v[82:83], s[18:19], v[32:33]
	v_add_f64_e32 v[42:43], v[103:104], v[42:43]
	v_mul_f64_e32 v[103:104], s[0:1], v[32:33]
	v_cmp_eq_u32_e64 s0, 1, v88
	s_mov_b32 s1, exec_lo
	s_wait_alu 0xf1ff
	s_delay_alu instid0(VALU_DEP_1)
	v_cndmask_b32_e64 v88, 0, 0x302, s0
	v_add_f64_e32 v[22:23], v[22:23], v[97:98]
	v_mul_f64_e32 v[97:98], s[14:15], v[78:79]
	v_add_f64_e32 v[117:118], v[117:118], v[127:128]
	v_mul_f64_e32 v[127:128], s[22:23], v[32:33]
	v_add_f64_e32 v[18:19], v[113:114], v[18:19]
	v_lshlrev_b32_e32 v88, 4, v88
	v_add_f64_e32 v[24:25], v[24:25], v[119:120]
	v_mul_f64_e32 v[119:120], s[6:7], v[32:33]
	v_mul_f64_e32 v[32:33], s[28:29], v[32:33]
	v_add_f64_e32 v[121:122], v[135:136], v[121:122]
	v_fma_f64 v[135:136], v[34:35], s[16:17], v[93:94]
	v_fma_f64 v[93:94], v[34:35], s[16:17], -v[93:94]
	v_add_f64_e32 v[28:29], v[28:29], v[40:41]
	v_fma_f64 v[40:41], v[34:35], s[2:3], v[105:106]
	v_fma_f64 v[105:106], v[34:35], s[2:3], -v[105:106]
	v_fma_f64 v[141:142], v[34:35], s[24:25], -v[80:81]
	v_add_f64_e32 v[20:21], v[125:126], v[20:21]
	v_fma_f64 v[125:126], v[34:35], s[24:25], v[80:81]
	v_add_f64_e32 v[89:90], v[129:130], v[89:90]
	v_fma_f64 v[129:130], v[34:35], s[12:13], v[111:112]
	v_fma_f64 v[111:112], v[34:35], s[12:13], -v[111:112]
	v_mul_f64_e32 v[80:81], s[20:21], v[34:35]
	v_add_f64_e32 v[34:35], v[133:134], v[95:96]
	v_fma_f64 v[95:96], v[60:61], s[2:3], -v[115:116]
	v_fma_f64 v[115:116], v[60:61], s[2:3], v[115:116]
	v_add_f64_e32 v[101:102], v[137:138], v[101:102]
	v_add_f64_e32 v[91:92], v[91:92], v[84:85]
	v_fma_f64 v[84:85], v[60:61], s[20:21], -v[139:140]
	v_add_f64_e32 v[107:108], v[107:108], v[123:124]
	v_mul_f64_e32 v[123:124], s[30:31], v[78:79]
	v_add_f64_e32 v[26:27], v[26:27], v[38:39]
	v_mul_f64_e32 v[38:39], s[18:19], v[78:79]
	v_fma_f64 v[133:134], v[60:61], s[20:21], v[139:140]
	v_add_f64_e32 v[131:132], v[131:132], v[86:87]
	v_mul_f64_e32 v[86:87], s[28:29], v[78:79]
	v_add_f64_e32 v[36:37], v[143:144], v[36:37]
	v_fma_f64 v[139:140], v[62:63], s[2:3], -v[119:120]
	v_add_f64_e32 v[42:43], v[93:94], v[42:43]
	v_fma_f64 v[93:94], v[62:63], s[24:25], -v[127:128]
	v_add_f64_e32 v[24:25], v[40:41], v[24:25]
	v_mul_f64_e32 v[40:41], s[28:29], v[16:17]
	v_add_f64_e32 v[22:23], v[141:142], v[22:23]
	v_add_f64_e32 v[117:118], v[129:130], v[117:118]
	;; [unrolled: 1-line block ×3, first 2 shown]
	v_fma_f64 v[137:138], v[66:67], s[18:19], v[80:81]
	v_add_f64_e32 v[129:130], v[10:11], v[14:15]
	v_add_f64_e32 v[95:96], v[95:96], v[109:110]
	v_fma_f64 v[109:110], v[62:63], s[20:21], -v[82:83]
	v_add_f64_e32 v[99:100], v[115:116], v[99:100]
	v_fma_f64 v[115:116], v[62:63], s[16:17], -v[103:104]
	v_fma_f64 v[103:104], v[62:63], s[16:17], v[103:104]
	v_add_f64_e32 v[121:122], v[84:85], v[121:122]
	v_fma_f64 v[113:114], v[30:31], s[2:3], v[123:124]
	v_fma_f64 v[123:124], v[30:31], s[2:3], -v[123:124]
	v_mul_f64_e32 v[84:85], s[24:25], v[30:31]
	v_add_f64_e32 v[28:29], v[133:134], v[28:29]
	v_fma_f64 v[133:134], v[30:31], s[20:21], v[38:39]
	v_fma_f64 v[38:39], v[30:31], s[20:21], -v[38:39]
	v_fma_f64 v[143:144], v[30:31], s[12:13], -v[86:87]
	v_add_f64_e32 v[105:106], v[105:106], v[26:27]
	v_add_f64_e32 v[36:37], v[125:126], v[36:37]
	;; [unrolled: 1-line block ×3, first 2 shown]
	v_fma_f64 v[139:140], v[76:77], s[12:13], v[40:41]
	v_add_f64_e32 v[20:21], v[137:138], v[20:21]
	v_fma_f64 v[137:138], v[30:31], s[12:13], v[86:87]
	v_mul_f64_e32 v[86:87], s[22:23], v[16:17]
	v_add_f64_e32 v[89:90], v[109:110], v[89:90]
	v_fma_f64 v[109:110], v[30:31], s[16:17], v[97:98]
	v_fma_f64 v[97:98], v[30:31], s[16:17], -v[97:98]
	v_add_f64_e32 v[30:31], v[135:136], v[34:35]
	v_fma_f64 v[34:35], v[62:63], s[2:3], v[119:120]
	v_add_f64_e32 v[101:102], v[115:116], v[101:102]
	v_mul_f64_e32 v[115:116], s[30:31], v[16:17]
	v_add_f64_e32 v[91:92], v[103:104], v[91:92]
	v_mul_f64_e32 v[103:104], s[18:19], v[16:17]
	v_fma_f64 v[119:120], v[62:63], s[24:25], v[127:128]
	v_mul_f64_e32 v[16:17], s[14:15], v[16:17]
	v_fma_f64 v[127:128], v[62:63], s[12:13], -v[32:33]
	v_fma_f64 v[32:33], v[62:63], s[12:13], v[32:33]
	v_fma_f64 v[26:27], v[78:79], s[22:23], v[84:85]
	v_add_f64_e32 v[93:94], v[93:94], v[95:96]
	v_fma_f64 v[135:136], v[76:77], s[12:13], -v[40:41]
	v_add_f64_e32 v[40:41], v[123:124], v[42:43]
	v_add_f64_e32 v[24:25], v[133:134], v[24:25]
	v_add_f64_e32 v[6:7], v[6:7], v[129:130]
	v_add_f64_e32 v[34:35], v[34:35], v[131:132]
	v_fma_f64 v[131:132], v[76:77], s[24:25], -v[86:87]
	v_fma_f64 v[125:126], v[76:77], s[2:3], -v[115:116]
	v_fma_f64 v[115:116], v[76:77], s[2:3], v[115:116]
	v_fma_f64 v[95:96], v[76:77], s[20:21], -v[103:104]
	v_fma_f64 v[103:104], v[76:77], s[20:21], v[103:104]
	v_add_f64_e32 v[99:100], v[119:120], v[99:100]
	v_fma_f64 v[119:120], v[76:77], s[16:17], -v[16:17]
	v_fma_f64 v[141:142], v[76:77], s[16:17], v[16:17]
	v_add_f64_e32 v[121:122], v[127:128], v[121:122]
	v_add_f64_e32 v[127:128], v[8:9], v[12:13]
	;; [unrolled: 1-line block ×20, first 2 shown]
	v_cmpx_gt_u32_e32 0x46, v47
	s_cbranch_execz .LBB0_15
; %bb.14:
	v_mul_f64_e32 v[56:57], s[2:3], v[56:57]
	v_mul_f64_e32 v[48:49], s[6:7], v[48:49]
	;; [unrolled: 1-line block ×4, first 2 shown]
	s_delay_alu instid0(VALU_DEP_4) | instskip(NEXT) | instid1(VALU_DEP_4)
	v_add_f64_e32 v[52:53], v[56:57], v[52:53]
	v_add_f64_e64 v[48:49], v[50:51], -v[48:49]
	v_mul_f64_e32 v[50:51], s[14:15], v[58:59]
	v_mul_f64_e32 v[56:57], s[16:17], v[60:61]
	v_add_f64_e32 v[58:59], v[70:71], v[72:73]
	v_add_f64_e64 v[54:55], v[68:69], -v[54:55]
	v_add_f64_e32 v[2:3], v[2:3], v[52:53]
	v_add_f64_e32 v[0:1], v[0:1], v[48:49]
	v_mul_f64_e32 v[48:49], s[18:19], v[66:67]
	v_mul_f64_e32 v[52:53], s[20:21], v[62:63]
	v_add_f64_e32 v[56:57], v[56:57], v[74:75]
	v_add_f64_e64 v[50:51], v[64:65], -v[50:51]
	v_add_f64_e32 v[2:3], v[58:59], v[2:3]
	v_add_f64_e32 v[0:1], v[54:55], v[0:1]
	;; [unrolled: 6-line block ×3, first 2 shown]
	v_add_f64_e64 v[54:55], v[84:85], -v[54:55]
	v_add_f64_e32 v[50:51], v[58:59], v[86:87]
	s_delay_alu instid0(VALU_DEP_4) | instskip(NEXT) | instid1(VALU_DEP_4)
	v_add_f64_e32 v[2:3], v[52:53], v[2:3]
	v_add_f64_e32 v[0:1], v[48:49], v[0:1]
	v_mul_u32_u24_e32 v48, 0xb0, v47
	s_delay_alu instid0(VALU_DEP_1) | instskip(NEXT) | instid1(VALU_DEP_4)
	v_add3_u32 v48, 0, v48, v88
	v_add_f64_e32 v[2:3], v[50:51], v[2:3]
	s_delay_alu instid0(VALU_DEP_4)
	v_add_f64_e32 v[0:1], v[54:55], v[0:1]
	ds_store_b128 v48, v[4:7]
	ds_store_b128 v48, v[8:11] offset:16
	ds_store_b128 v48, v[12:15] offset:32
	;; [unrolled: 1-line block ×10, first 2 shown]
.LBB0_15:
	s_wait_alu 0xfffe
	s_or_b32 exec_lo, exec_lo, s1
	v_cmp_gt_u32_e64 s0, 0x4d, v47
	v_lshlrev_b32_e32 v0, 4, v47
	global_wb scope:SCOPE_SE
	s_wait_dscnt 0x0
	s_barrier_signal -1
	s_barrier_wait -1
	global_inv scope:SCOPE_SE
	s_and_saveexec_b32 s1, s0
	s_cbranch_execz .LBB0_17
; %bb.16:
	v_add3_u32 v1, 0, v88, v0
	v_add3_u32 v2, 0, v0, v88
	ds_load_b128 v[4:7], v1
	ds_load_b128 v[8:11], v2 offset:1232
	ds_load_b128 v[12:15], v2 offset:2464
	;; [unrolled: 1-line block ×9, first 2 shown]
.LBB0_17:
	s_wait_alu 0xfffe
	s_or_b32 exec_lo, exec_lo, s1
	global_wb scope:SCOPE_SE
	s_wait_dscnt 0x0
	s_barrier_signal -1
	s_barrier_wait -1
	global_inv scope:SCOPE_SE
	s_and_saveexec_b32 s12, s0
	s_cbranch_execz .LBB0_19
; %bb.18:
	v_and_b32_e32 v1, 0xff, v47
	s_mov_b32 s2, 0x134454ff
	s_mov_b32 s3, 0xbfee6f0e
	;; [unrolled: 1-line block ×3, first 2 shown]
	s_wait_alu 0xfffe
	s_mov_b32 s0, s2
	v_mul_lo_u16 v1, 0x75, v1
	s_mov_b32 s10, 0x4755a5e
	s_mov_b32 s11, 0xbfe2cf23
	;; [unrolled: 1-line block ×3, first 2 shown]
	s_wait_alu 0xfffe
	s_mov_b32 s6, s10
	v_lshrrev_b16 v1, 8, v1
	s_mov_b32 s14, 0x372fe950
	s_mov_b32 s15, 0x3fd3c6ef
	;; [unrolled: 1-line block ×4, first 2 shown]
	v_sub_nc_u16 v2, v47, v1
	s_mov_b32 s21, 0x3fe9e377
	s_wait_alu 0xfffe
	s_mov_b32 s20, s16
	s_mov_b32 s19, 0xbfd3c6ef
	;; [unrolled: 1-line block ×3, first 2 shown]
	v_lshrrev_b16 v2, 1, v2
	s_delay_alu instid0(VALU_DEP_1) | instskip(NEXT) | instid1(VALU_DEP_1)
	v_and_b32_e32 v2, 0x7f, v2
	v_add_nc_u16 v1, v2, v1
	s_delay_alu instid0(VALU_DEP_1) | instskip(NEXT) | instid1(VALU_DEP_1)
	v_lshrrev_b16 v1, 3, v1
	v_mul_lo_u16 v2, v1, 11
	v_and_b32_e32 v1, 0xffff, v1
	s_delay_alu instid0(VALU_DEP_2) | instskip(NEXT) | instid1(VALU_DEP_2)
	v_sub_nc_u16 v2, v47, v2
	v_mad_u32_u24 v1, 0x6e0, v1, 0
	s_delay_alu instid0(VALU_DEP_2) | instskip(NEXT) | instid1(VALU_DEP_1)
	v_and_b32_e32 v2, 0xff, v2
	v_mul_u32_u24_e32 v3, 9, v2
	v_lshlrev_b32_e32 v2, 4, v2
	s_delay_alu instid0(VALU_DEP_2) | instskip(NEXT) | instid1(VALU_DEP_2)
	v_lshlrev_b32_e32 v3, 4, v3
	v_add3_u32 v1, v1, v2, v88
	s_clause 0x8
	global_load_b128 v[48:51], v3, s[4:5] offset:64
	global_load_b128 v[52:55], v3, s[4:5] offset:96
	;; [unrolled: 1-line block ×4, first 2 shown]
	global_load_b128 v[64:67], v3, s[4:5]
	global_load_b128 v[68:71], v3, s[4:5] offset:16
	global_load_b128 v[72:75], v3, s[4:5] offset:48
	;; [unrolled: 1-line block ×4, first 2 shown]
	s_wait_loadcnt 0x8
	v_mul_f64_e32 v[84:85], v[32:33], v[50:51]
	s_wait_loadcnt 0x7
	v_mul_f64_e32 v[86:87], v[36:37], v[54:55]
	;; [unrolled: 2-line block ×4, first 2 shown]
	v_mul_f64_e32 v[58:59], v[26:27], v[58:59]
	v_mul_f64_e32 v[50:51], v[34:35], v[50:51]
	;; [unrolled: 1-line block ×4, first 2 shown]
	s_wait_loadcnt 0x4
	v_mul_f64_e32 v[93:94], v[8:9], v[66:67]
	v_mul_f64_e32 v[66:67], v[10:11], v[66:67]
	v_fma_f64 v[34:35], v[34:35], v[48:49], -v[84:85]
	v_fma_f64 v[38:39], v[38:39], v[52:53], -v[86:87]
	;; [unrolled: 1-line block ×4, first 2 shown]
	s_wait_loadcnt 0x3
	v_mul_f64_e32 v[84:85], v[12:13], v[70:71]
	s_wait_loadcnt 0x2
	v_mul_f64_e32 v[86:87], v[16:17], v[74:75]
	;; [unrolled: 2-line block ×4, first 2 shown]
	v_mul_f64_e32 v[74:75], v[18:19], v[74:75]
	v_mul_f64_e32 v[78:79], v[22:23], v[78:79]
	v_fma_f64 v[24:25], v[24:25], v[56:57], v[58:59]
	v_fma_f64 v[32:33], v[32:33], v[48:49], v[50:51]
	;; [unrolled: 1-line block ×4, first 2 shown]
	v_fma_f64 v[10:11], v[10:11], v[64:65], -v[93:94]
	v_mul_f64_e32 v[70:71], v[14:15], v[70:71]
	v_mul_f64_e32 v[82:83], v[30:31], v[82:83]
	v_fma_f64 v[8:9], v[8:9], v[64:65], v[66:67]
	v_add_f64_e32 v[48:49], v[34:35], v[38:39]
	v_add_f64_e64 v[62:63], v[34:35], -v[38:39]
	v_add_f64_e32 v[50:51], v[26:27], v[42:43]
	v_fma_f64 v[14:15], v[14:15], v[68:69], -v[84:85]
	v_fma_f64 v[18:19], v[18:19], v[72:73], -v[86:87]
	;; [unrolled: 1-line block ×4, first 2 shown]
	v_fma_f64 v[16:17], v[16:17], v[72:73], v[74:75]
	v_fma_f64 v[20:21], v[20:21], v[76:77], v[78:79]
	v_add_f64_e64 v[64:65], v[26:27], -v[42:43]
	v_add_f64_e64 v[66:67], v[26:27], -v[34:35]
	v_add_f64_e32 v[52:53], v[32:33], v[36:37]
	v_add_f64_e64 v[54:55], v[24:25], -v[40:41]
	v_add_f64_e32 v[56:57], v[24:25], v[40:41]
	v_add_f64_e64 v[58:59], v[32:33], -v[36:37]
	v_fma_f64 v[12:13], v[12:13], v[68:69], v[70:71]
	v_fma_f64 v[28:29], v[28:29], v[80:81], v[82:83]
	v_add_f64_e64 v[68:69], v[42:43], -v[38:39]
	v_add_f64_e64 v[72:73], v[34:35], -v[26:27]
	;; [unrolled: 1-line block ×7, first 2 shown]
	v_fma_f64 v[48:49], v[48:49], -0.5, v[10:11]
	v_fma_f64 v[50:51], v[50:51], -0.5, v[10:11]
	v_add_f64_e32 v[97:98], v[6:7], v[14:15]
	v_add_f64_e32 v[10:11], v[10:11], v[26:27]
	;; [unrolled: 1-line block ×4, first 2 shown]
	v_add_f64_e64 v[99:100], v[14:15], -v[30:31]
	v_add_f64_e32 v[76:77], v[16:17], v[20:21]
	v_add_f64_e64 v[86:87], v[16:17], -v[20:21]
	v_add_f64_e64 v[26:27], v[18:19], -v[22:23]
	v_fma_f64 v[52:53], v[52:53], -0.5, v[8:9]
	v_fma_f64 v[56:57], v[56:57], -0.5, v[8:9]
	v_add_f64_e32 v[8:9], v[8:9], v[24:25]
	v_add_f64_e32 v[101:102], v[4:5], v[12:13]
	;; [unrolled: 1-line block ×3, first 2 shown]
	v_add_f64_e64 v[84:85], v[12:13], -v[28:29]
	v_add_f64_e64 v[103:104], v[20:21], -v[28:29]
	v_add_f64_e32 v[89:90], v[89:90], v[91:92]
	v_add_f64_e32 v[91:92], v[93:94], v[95:96]
	v_fma_f64 v[80:81], v[54:55], s[2:3], v[48:49]
	v_fma_f64 v[48:49], v[54:55], s[0:1], v[48:49]
	;; [unrolled: 1-line block ×4, first 2 shown]
	v_add_f64_e32 v[10:11], v[10:11], v[34:35]
	v_fma_f64 v[24:25], v[60:61], -0.5, v[6:7]
	v_fma_f64 v[6:7], v[70:71], -0.5, v[6:7]
	v_add_f64_e32 v[60:61], v[66:67], v[68:69]
	v_add_f64_e32 v[66:67], v[72:73], v[74:75]
	v_fma_f64 v[68:69], v[76:77], -0.5, v[4:5]
	v_fma_f64 v[70:71], v[64:65], s[0:1], v[52:53]
	v_fma_f64 v[52:53], v[64:65], s[2:3], v[52:53]
	;; [unrolled: 1-line block ×4, first 2 shown]
	v_add_f64_e32 v[8:9], v[8:9], v[32:33]
	v_fma_f64 v[3:4], v[78:79], -0.5, v[4:5]
	v_add_f64_e64 v[78:79], v[22:23], -v[30:31]
	v_fma_f64 v[74:75], v[58:59], s[10:11], v[80:81]
	v_fma_f64 v[48:49], v[58:59], s[6:7], v[48:49]
	;; [unrolled: 1-line block ×4, first 2 shown]
	v_add_f64_e64 v[54:55], v[14:15], -v[18:19]
	v_add_f64_e64 v[14:15], v[18:19], -v[14:15]
	;; [unrolled: 1-line block ×4, first 2 shown]
	v_add_f64_e32 v[18:19], v[97:98], v[18:19]
	v_add_f64_e32 v[16:17], v[101:102], v[16:17]
	v_add_f64_e64 v[58:59], v[30:31], -v[22:23]
	v_add_f64_e64 v[82:83], v[28:29], -v[20:21]
	v_fma_f64 v[32:33], v[84:85], s[2:3], v[24:25]
	v_fma_f64 v[24:25], v[84:85], s[0:1], v[24:25]
	;; [unrolled: 1-line block ×11, first 2 shown]
	v_add_f64_e32 v[10:11], v[10:11], v[38:39]
	v_add_f64_e32 v[7:8], v[8:9], v[36:37]
	v_fma_f64 v[64:65], v[60:61], s[14:15], v[74:75]
	v_fma_f64 v[48:49], v[60:61], s[14:15], v[48:49]
	;; [unrolled: 1-line block ×5, first 2 shown]
	v_add_f64_e32 v[14:15], v[14:15], v[78:79]
	v_add_f64_e32 v[12:13], v[12:13], v[103:104]
	;; [unrolled: 1-line block ×6, first 2 shown]
	v_fma_f64 v[20:21], v[86:87], s[10:11], v[32:33]
	v_fma_f64 v[24:25], v[86:87], s[6:7], v[24:25]
	v_fma_f64 v[32:33], v[26:27], s[6:7], v[93:94]
	v_fma_f64 v[38:39], v[91:92], s[14:15], v[72:73]
	v_fma_f64 v[56:57], v[91:92], s[14:15], v[56:57]
	v_fma_f64 v[52:53], v[89:90], s[14:15], v[52:53]
	v_fma_f64 v[22:23], v[84:85], s[10:11], v[34:35]
	v_fma_f64 v[5:6], v[84:85], s[6:7], v[5:6]
	v_fma_f64 v[34:35], v[99:100], s[6:7], v[95:96]
	v_fma_f64 v[36:37], v[89:90], s[14:15], v[70:71]
	v_fma_f64 v[3:4], v[99:100], s[10:11], v[3:4]
	v_add_f64_e32 v[9:10], v[10:11], v[42:43]
	v_add_f64_e32 v[7:8], v[7:8], v[40:41]
	v_mul_f64_e32 v[60:61], s[16:17], v[64:65]
	v_mul_f64_e32 v[64:65], s[10:11], v[64:65]
	s_wait_alu 0xfffe
	v_mul_f64_e32 v[62:63], s[18:19], v[74:75]
	v_mul_f64_e32 v[68:69], s[14:15], v[50:51]
	v_fma_f64 v[26:27], v[26:27], s[10:11], v[66:67]
	v_mul_f64_e32 v[66:67], s[20:21], v[48:49]
	v_mul_f64_e32 v[48:49], s[10:11], v[48:49]
	;; [unrolled: 1-line block ×4, first 2 shown]
	v_add_f64_e32 v[18:19], v[18:19], v[30:31]
	v_add_f64_e32 v[16:17], v[16:17], v[28:29]
	v_fma_f64 v[28:29], v[54:55], s[14:15], v[20:21]
	v_fma_f64 v[42:43], v[54:55], s[14:15], v[24:25]
	;; [unrolled: 1-line block ×16, first 2 shown]
	v_add_f64_e64 v[5:6], v[18:19], -v[9:10]
	v_add_f64_e64 v[3:4], v[16:17], -v[7:8]
	v_add_f64_e32 v[9:10], v[18:19], v[9:10]
	v_add_f64_e32 v[7:8], v[16:17], v[7:8]
	v_add_f64_e64 v[13:14], v[28:29], -v[23:24]
	v_add_f64_e32 v[25:26], v[28:29], v[23:24]
	v_add_f64_e64 v[17:18], v[30:31], -v[32:33]
	v_add_f64_e32 v[29:30], v[30:31], v[32:33]
	v_add_f64_e32 v[33:34], v[40:41], v[60:61]
	;; [unrolled: 1-line block ×4, first 2 shown]
	v_add_f64_e64 v[21:22], v[40:41], -v[60:61]
	v_add_f64_e64 v[41:42], v[42:43], -v[66:67]
	v_add_f64_e32 v[31:32], v[11:12], v[50:51]
	v_add_f64_e32 v[27:28], v[62:63], v[52:53]
	;; [unrolled: 1-line block ×3, first 2 shown]
	v_add_f64_e64 v[39:40], v[58:59], -v[48:49]
	v_add_f64_e64 v[19:20], v[11:12], -v[50:51]
	;; [unrolled: 1-line block ×4, first 2 shown]
	ds_store_b128 v1, v[7:10]
	ds_store_b128 v1, v[35:38] offset:176
	ds_store_b128 v1, v[31:34] offset:352
	;; [unrolled: 1-line block ×9, first 2 shown]
.LBB0_19:
	s_wait_alu 0xfffe
	s_or_b32 exec_lo, exec_lo, s12
	global_wb scope:SCOPE_SE
	s_wait_dscnt 0x0
	s_barrier_signal -1
	s_barrier_wait -1
	global_inv scope:SCOPE_SE
	s_and_saveexec_b32 s0, vcc_lo
	s_cbranch_execz .LBB0_21
; %bb.20:
	v_mul_u32_u24_e32 v1, 6, v47
	v_add3_u32 v43, 0, v0, v88
	v_add3_u32 v0, 0, v88, v0
	s_mov_b32 s0, 0xe976ee23
	s_mov_b32 s1, 0x3fe11646
	v_lshlrev_b32_e32 v21, 4, v1
	s_mov_b32 s2, 0x37e14327
	s_mov_b32 s3, 0x3fe948f6
	;; [unrolled: 1-line block ×4, first 2 shown]
	s_clause 0x5
	global_load_b128 v[1:4], v21, s[4:5] offset:1600
	global_load_b128 v[5:8], v21, s[4:5] offset:1648
	;; [unrolled: 1-line block ×6, first 2 shown]
	ds_load_b128 v[25:28], v43 offset:3520
	ds_load_b128 v[29:32], v43 offset:8800
	;; [unrolled: 1-line block ×6, first 2 shown]
	s_mov_b32 s4, 0x429ad128
	s_mov_b32 s5, 0xbfebfeb5
	;; [unrolled: 1-line block ×4, first 2 shown]
	s_wait_loadcnt_dscnt 0x505
	v_mul_f64_e32 v[41:42], v[25:26], v[3:4]
	s_wait_loadcnt_dscnt 0x404
	v_mul_f64_e32 v[55:56], v[29:30], v[7:8]
	;; [unrolled: 2-line block ×4, first 2 shown]
	v_mul_f64_e32 v[3:4], v[3:4], v[27:28]
	v_mul_f64_e32 v[7:8], v[7:8], v[31:32]
	;; [unrolled: 1-line block ×4, first 2 shown]
	s_wait_loadcnt_dscnt 0x101
	v_mul_f64_e32 v[61:62], v[19:20], v[49:50]
	s_wait_loadcnt_dscnt 0x0
	v_mul_f64_e32 v[63:64], v[23:24], v[53:54]
	v_mul_f64_e32 v[23:24], v[51:52], v[23:24]
	;; [unrolled: 1-line block ×3, first 2 shown]
	v_fma_f64 v[27:28], v[1:2], v[27:28], -v[41:42]
	v_fma_f64 v[31:32], v[5:6], v[31:32], -v[55:56]
	;; [unrolled: 1-line block ×4, first 2 shown]
	v_fma_f64 v[1:2], v[1:2], v[25:26], v[3:4]
	v_fma_f64 v[3:4], v[5:6], v[29:30], v[7:8]
	v_fma_f64 v[5:6], v[9:10], v[33:34], v[11:12]
	v_fma_f64 v[7:8], v[13:14], v[37:38], v[15:16]
	v_fma_f64 v[9:10], v[17:18], v[47:48], v[61:62]
	v_fma_f64 v[11:12], v[21:22], v[51:52], v[63:64]
	v_fma_f64 v[13:14], v[21:22], v[53:54], -v[23:24]
	v_fma_f64 v[15:16], v[17:18], v[49:50], -v[19:20]
	v_add_f64_e32 v[17:18], v[27:28], v[31:32]
	v_add_f64_e32 v[19:20], v[35:36], v[39:40]
	;; [unrolled: 1-line block ×3, first 2 shown]
	v_add_f64_e64 v[29:30], v[1:2], -v[3:4]
	v_add_f64_e32 v[23:24], v[5:6], v[7:8]
	v_add_f64_e64 v[5:6], v[5:6], -v[7:8]
	v_add_f64_e64 v[25:26], v[9:10], -v[11:12]
	v_add_f64_e32 v[3:4], v[9:10], v[11:12]
	v_add_f64_e32 v[1:2], v[15:16], v[13:14]
	v_add_f64_e64 v[13:14], v[15:16], -v[13:14]
	v_add_f64_e64 v[15:16], v[27:28], -v[31:32]
	;; [unrolled: 1-line block ×3, first 2 shown]
	v_add_f64_e32 v[7:8], v[17:18], v[19:20]
	v_add_f64_e32 v[11:12], v[21:22], v[23:24]
	v_add_f64_e64 v[37:38], v[29:30], -v[5:6]
	v_add_f64_e64 v[27:28], v[25:26], -v[29:30]
	;; [unrolled: 1-line block ×8, first 2 shown]
	v_add_f64_e32 v[29:30], v[25:26], v[29:30]
	v_add_f64_e64 v[25:26], v[5:6], -v[25:26]
	v_add_f64_e64 v[49:50], v[9:10], -v[13:14]
	;; [unrolled: 1-line block ×4, first 2 shown]
	v_add_f64_e32 v[13:14], v[13:14], v[15:16]
	v_add_f64_e32 v[7:8], v[1:2], v[7:8]
	;; [unrolled: 1-line block ×3, first 2 shown]
	ds_load_b128 v[0:3], v0
	s_wait_alu 0xfffe
	v_mul_f64_e32 v[27:28], s[0:1], v[27:28]
	v_mul_f64_e32 v[21:22], s[2:3], v[35:36]
	;; [unrolled: 1-line block ×5, first 2 shown]
	s_mov_b32 s0, 0x36b3c0b5
	s_mov_b32 s1, 0x3fac98ee
	v_mul_f64_e32 v[35:36], s[4:5], v[41:42]
	s_wait_alu 0xfffe
	v_mul_f64_e32 v[15:16], s[0:1], v[39:40]
	v_mul_f64_e32 v[51:52], s[0:1], v[47:48]
	s_mov_b32 s3, 0xbfd5d0dc
	s_mov_b32 s2, 0xb247c609
	v_add_f64_e32 v[4:5], v[29:30], v[5:6]
	s_wait_dscnt 0x0
	v_add_f64_e32 v[2:3], v[2:3], v[7:8]
	v_add_f64_e32 v[0:1], v[0:1], v[11:12]
	s_wait_alu 0xfffe
	v_fma_f64 v[29:30], v[25:26], s[2:3], v[27:28]
	v_fma_f64 v[55:56], v[19:20], s[10:11], -v[21:22]
	v_fma_f64 v[39:40], v[39:40], s[0:1], v[31:32]
	v_fma_f64 v[31:32], v[17:18], s[10:11], -v[31:32]
	v_fma_f64 v[53:54], v[49:50], s[2:3], v[33:34]
	s_mov_b32 s3, 0x3fd5d0dc
	s_mov_b32 s11, 0x3fe77f67
	v_fma_f64 v[27:28], v[37:38], s[4:5], -v[27:28]
	s_wait_alu 0xfffe
	v_fma_f64 v[23:24], v[25:26], s[2:3], -v[23:24]
	v_fma_f64 v[19:20], v[19:20], s[10:11], -v[51:52]
	v_fma_f64 v[6:7], v[7:8], s[6:7], v[2:3]
	v_add_f64_e32 v[8:9], v[13:14], v[9:10]
	v_fma_f64 v[13:14], v[17:18], s[10:11], -v[15:16]
	v_fma_f64 v[15:16], v[47:48], s[0:1], v[21:22]
	v_fma_f64 v[10:11], v[11:12], s[6:7], v[0:1]
	v_fma_f64 v[17:18], v[41:42], s[4:5], -v[33:34]
	v_fma_f64 v[21:22], v[49:50], s[2:3], -v[35:36]
	s_mov_b32 s0, 0x37c3f68c
	s_mov_b32 s1, 0xbfdc38aa
	v_mov_b32_e32 v47, 0
	s_wait_alu 0xfffe
	v_fma_f64 v[25:26], v[4:5], s[0:1], v[29:30]
	v_fma_f64 v[27:28], v[4:5], s[0:1], v[27:28]
	;; [unrolled: 1-line block ×3, first 2 shown]
	v_add_f64_e32 v[29:30], v[39:40], v[6:7]
	v_add_f64_e32 v[23:24], v[31:32], v[6:7]
	;; [unrolled: 1-line block ×3, first 2 shown]
	v_fma_f64 v[31:32], v[8:9], s[0:1], v[53:54]
	v_add_f64_e32 v[35:36], v[15:16], v[10:11]
	v_fma_f64 v[33:34], v[8:9], s[0:1], v[17:18]
	v_fma_f64 v[8:9], v[8:9], s[0:1], v[21:22]
	v_add_f64_e32 v[37:38], v[55:56], v[10:11]
	v_add_f64_e32 v[39:40], v[19:20], v[10:11]
	;; [unrolled: 1-line block ×4, first 2 shown]
	v_add_f64_e64 v[14:15], v[12:13], -v[27:28]
	v_add_f64_e32 v[18:19], v[27:28], v[12:13]
	v_add_f64_e64 v[22:23], v[23:24], -v[4:5]
	v_add_f64_e64 v[26:27], v[29:30], -v[25:26]
	v_add_f64_e32 v[24:25], v[31:32], v[35:36]
	v_add_f64_e32 v[20:21], v[8:9], v[37:38]
	v_add_f64_e64 v[16:17], v[39:40], -v[33:34]
	v_add_f64_e32 v[12:13], v[33:34], v[39:40]
	v_add_f64_e64 v[8:9], v[37:38], -v[8:9]
	v_add_f64_e64 v[4:5], v[35:36], -v[31:32]
	v_lshlrev_b64_e32 v[28:29], 4, v[44:45]
	v_lshlrev_b64_e32 v[30:31], 4, v[46:47]
	s_delay_alu instid0(VALU_DEP_2) | instskip(SKIP_1) | instid1(VALU_DEP_3)
	v_add_co_u32 v28, vcc_lo, s8, v28
	s_wait_alu 0xfffd
	v_add_co_ci_u32_e32 v29, vcc_lo, s9, v29, vcc_lo
	s_delay_alu instid0(VALU_DEP_2) | instskip(SKIP_1) | instid1(VALU_DEP_2)
	v_add_co_u32 v28, vcc_lo, v28, v30
	s_wait_alu 0xfffd
	v_add_co_ci_u32_e32 v29, vcc_lo, v29, v31, vcc_lo
	s_clause 0x6
	global_store_b128 v[28:29], v[0:3], off
	global_store_b128 v[28:29], v[24:27], off offset:1760
	global_store_b128 v[28:29], v[20:23], off offset:3520
	;; [unrolled: 1-line block ×6, first 2 shown]
.LBB0_21:
	s_nop 0
	s_sendmsg sendmsg(MSG_DEALLOC_VGPRS)
	s_endpgm
	.section	.rodata,"a",@progbits
	.p2align	6, 0x0
	.amdhsa_kernel fft_rtc_back_len770_factors_11_10_7_wgs_220_tpt_110_dp_ip_CI_unitstride_sbrr_dirReg
		.amdhsa_group_segment_fixed_size 0
		.amdhsa_private_segment_fixed_size 0
		.amdhsa_kernarg_size 88
		.amdhsa_user_sgpr_count 2
		.amdhsa_user_sgpr_dispatch_ptr 0
		.amdhsa_user_sgpr_queue_ptr 0
		.amdhsa_user_sgpr_kernarg_segment_ptr 1
		.amdhsa_user_sgpr_dispatch_id 0
		.amdhsa_user_sgpr_private_segment_size 0
		.amdhsa_wavefront_size32 1
		.amdhsa_uses_dynamic_stack 0
		.amdhsa_enable_private_segment 0
		.amdhsa_system_sgpr_workgroup_id_x 1
		.amdhsa_system_sgpr_workgroup_id_y 0
		.amdhsa_system_sgpr_workgroup_id_z 0
		.amdhsa_system_sgpr_workgroup_info 0
		.amdhsa_system_vgpr_workitem_id 0
		.amdhsa_next_free_vgpr 147
		.amdhsa_next_free_sgpr 32
		.amdhsa_reserve_vcc 1
		.amdhsa_float_round_mode_32 0
		.amdhsa_float_round_mode_16_64 0
		.amdhsa_float_denorm_mode_32 3
		.amdhsa_float_denorm_mode_16_64 3
		.amdhsa_fp16_overflow 0
		.amdhsa_workgroup_processor_mode 1
		.amdhsa_memory_ordered 1
		.amdhsa_forward_progress 0
		.amdhsa_round_robin_scheduling 0
		.amdhsa_exception_fp_ieee_invalid_op 0
		.amdhsa_exception_fp_denorm_src 0
		.amdhsa_exception_fp_ieee_div_zero 0
		.amdhsa_exception_fp_ieee_overflow 0
		.amdhsa_exception_fp_ieee_underflow 0
		.amdhsa_exception_fp_ieee_inexact 0
		.amdhsa_exception_int_div_zero 0
	.end_amdhsa_kernel
	.text
.Lfunc_end0:
	.size	fft_rtc_back_len770_factors_11_10_7_wgs_220_tpt_110_dp_ip_CI_unitstride_sbrr_dirReg, .Lfunc_end0-fft_rtc_back_len770_factors_11_10_7_wgs_220_tpt_110_dp_ip_CI_unitstride_sbrr_dirReg
                                        ; -- End function
	.section	.AMDGPU.csdata,"",@progbits
; Kernel info:
; codeLenInByte = 6644
; NumSgprs: 34
; NumVgprs: 147
; ScratchSize: 0
; MemoryBound: 1
; FloatMode: 240
; IeeeMode: 1
; LDSByteSize: 0 bytes/workgroup (compile time only)
; SGPRBlocks: 4
; VGPRBlocks: 18
; NumSGPRsForWavesPerEU: 34
; NumVGPRsForWavesPerEU: 147
; Occupancy: 9
; WaveLimiterHint : 1
; COMPUTE_PGM_RSRC2:SCRATCH_EN: 0
; COMPUTE_PGM_RSRC2:USER_SGPR: 2
; COMPUTE_PGM_RSRC2:TRAP_HANDLER: 0
; COMPUTE_PGM_RSRC2:TGID_X_EN: 1
; COMPUTE_PGM_RSRC2:TGID_Y_EN: 0
; COMPUTE_PGM_RSRC2:TGID_Z_EN: 0
; COMPUTE_PGM_RSRC2:TIDIG_COMP_CNT: 0
	.text
	.p2alignl 7, 3214868480
	.fill 96, 4, 3214868480
	.type	__hip_cuid_5f487e424c5a821,@object ; @__hip_cuid_5f487e424c5a821
	.section	.bss,"aw",@nobits
	.globl	__hip_cuid_5f487e424c5a821
__hip_cuid_5f487e424c5a821:
	.byte	0                               ; 0x0
	.size	__hip_cuid_5f487e424c5a821, 1

	.ident	"AMD clang version 19.0.0git (https://github.com/RadeonOpenCompute/llvm-project roc-6.4.0 25133 c7fe45cf4b819c5991fe208aaa96edf142730f1d)"
	.section	".note.GNU-stack","",@progbits
	.addrsig
	.addrsig_sym __hip_cuid_5f487e424c5a821
	.amdgpu_metadata
---
amdhsa.kernels:
  - .args:
      - .actual_access:  read_only
        .address_space:  global
        .offset:         0
        .size:           8
        .value_kind:     global_buffer
      - .offset:         8
        .size:           8
        .value_kind:     by_value
      - .actual_access:  read_only
        .address_space:  global
        .offset:         16
        .size:           8
        .value_kind:     global_buffer
      - .actual_access:  read_only
        .address_space:  global
        .offset:         24
        .size:           8
        .value_kind:     global_buffer
      - .offset:         32
        .size:           8
        .value_kind:     by_value
      - .actual_access:  read_only
        .address_space:  global
        .offset:         40
        .size:           8
        .value_kind:     global_buffer
      - .actual_access:  read_only
        .address_space:  global
        .offset:         48
        .size:           8
        .value_kind:     global_buffer
      - .offset:         56
        .size:           4
        .value_kind:     by_value
      - .actual_access:  read_only
        .address_space:  global
        .offset:         64
        .size:           8
        .value_kind:     global_buffer
      - .actual_access:  read_only
        .address_space:  global
        .offset:         72
        .size:           8
        .value_kind:     global_buffer
      - .address_space:  global
        .offset:         80
        .size:           8
        .value_kind:     global_buffer
    .group_segment_fixed_size: 0
    .kernarg_segment_align: 8
    .kernarg_segment_size: 88
    .language:       OpenCL C
    .language_version:
      - 2
      - 0
    .max_flat_workgroup_size: 220
    .name:           fft_rtc_back_len770_factors_11_10_7_wgs_220_tpt_110_dp_ip_CI_unitstride_sbrr_dirReg
    .private_segment_fixed_size: 0
    .sgpr_count:     34
    .sgpr_spill_count: 0
    .symbol:         fft_rtc_back_len770_factors_11_10_7_wgs_220_tpt_110_dp_ip_CI_unitstride_sbrr_dirReg.kd
    .uniform_work_group_size: 1
    .uses_dynamic_stack: false
    .vgpr_count:     147
    .vgpr_spill_count: 0
    .wavefront_size: 32
    .workgroup_processor_mode: 1
amdhsa.target:   amdgcn-amd-amdhsa--gfx1201
amdhsa.version:
  - 1
  - 2
...

	.end_amdgpu_metadata
